;; amdgpu-corpus repo=ROCm/rocFFT kind=compiled arch=gfx1201 opt=O3
	.text
	.amdgcn_target "amdgcn-amd-amdhsa--gfx1201"
	.amdhsa_code_object_version 6
	.protected	fft_rtc_back_len858_factors_13_11_6_wgs_234_tpt_78_halfLds_half_op_CI_CI_unitstride_sbrr_R2C_dirReg ; -- Begin function fft_rtc_back_len858_factors_13_11_6_wgs_234_tpt_78_halfLds_half_op_CI_CI_unitstride_sbrr_R2C_dirReg
	.globl	fft_rtc_back_len858_factors_13_11_6_wgs_234_tpt_78_halfLds_half_op_CI_CI_unitstride_sbrr_R2C_dirReg
	.p2align	8
	.type	fft_rtc_back_len858_factors_13_11_6_wgs_234_tpt_78_halfLds_half_op_CI_CI_unitstride_sbrr_R2C_dirReg,@function
fft_rtc_back_len858_factors_13_11_6_wgs_234_tpt_78_halfLds_half_op_CI_CI_unitstride_sbrr_R2C_dirReg: ; @fft_rtc_back_len858_factors_13_11_6_wgs_234_tpt_78_halfLds_half_op_CI_CI_unitstride_sbrr_R2C_dirReg
; %bb.0:
	s_load_b128 s[8:11], s[0:1], 0x0
	v_mul_u32_u24_e32 v1, 0x349, v0
	s_clause 0x1
	s_load_b128 s[4:7], s[0:1], 0x58
	s_load_b128 s[12:15], s[0:1], 0x18
	v_mov_b32_e32 v5, 0
	v_lshrrev_b32_e32 v3, 16, v1
	v_mov_b32_e32 v1, 0
	v_mov_b32_e32 v2, 0
	s_delay_alu instid0(VALU_DEP_3) | instskip(NEXT) | instid1(VALU_DEP_2)
	v_mad_co_u64_u32 v[3:4], null, ttmp9, 3, v[3:4]
	v_dual_mov_b32 v4, v5 :: v_dual_mov_b32 v9, v2
	s_delay_alu instid0(VALU_DEP_1) | instskip(NEXT) | instid1(VALU_DEP_3)
	v_dual_mov_b32 v8, v1 :: v_dual_mov_b32 v13, v4
	v_mov_b32_e32 v12, v3
	s_wait_kmcnt 0x0
	v_cmp_lt_u64_e64 s2, s[10:11], 2
	s_delay_alu instid0(VALU_DEP_1)
	s_and_b32 vcc_lo, exec_lo, s2
	s_cbranch_vccnz .LBB0_8
; %bb.1:
	s_load_b64 s[2:3], s[0:1], 0x10
	v_mov_b32_e32 v1, 0
	v_dual_mov_b32 v2, 0 :: v_dual_mov_b32 v11, v4
	v_mov_b32_e32 v10, v3
	s_add_nc_u64 s[16:17], s[14:15], 8
	s_add_nc_u64 s[18:19], s[12:13], 8
	s_delay_alu instid0(VALU_DEP_2)
	v_dual_mov_b32 v9, v2 :: v_dual_mov_b32 v8, v1
	s_mov_b64 s[20:21], 1
	s_wait_kmcnt 0x0
	s_add_nc_u64 s[22:23], s[2:3], 8
	s_mov_b32 s3, 0
.LBB0_2:                                ; =>This Inner Loop Header: Depth=1
	s_load_b64 s[24:25], s[22:23], 0x0
                                        ; implicit-def: $vgpr12_vgpr13
	s_mov_b32 s2, exec_lo
	s_wait_kmcnt 0x0
	v_or_b32_e32 v6, s25, v11
	s_delay_alu instid0(VALU_DEP_1)
	v_cmpx_ne_u64_e32 0, v[5:6]
	s_wait_alu 0xfffe
	s_xor_b32 s26, exec_lo, s2
	s_cbranch_execz .LBB0_4
; %bb.3:                                ;   in Loop: Header=BB0_2 Depth=1
	s_cvt_f32_u32 s2, s24
	s_cvt_f32_u32 s27, s25
	s_sub_nc_u64 s[30:31], 0, s[24:25]
	s_wait_alu 0xfffe
	s_delay_alu instid0(SALU_CYCLE_1) | instskip(SKIP_1) | instid1(SALU_CYCLE_2)
	s_fmamk_f32 s2, s27, 0x4f800000, s2
	s_wait_alu 0xfffe
	v_s_rcp_f32 s2, s2
	s_delay_alu instid0(TRANS32_DEP_1) | instskip(SKIP_1) | instid1(SALU_CYCLE_2)
	s_mul_f32 s2, s2, 0x5f7ffffc
	s_wait_alu 0xfffe
	s_mul_f32 s27, s2, 0x2f800000
	s_wait_alu 0xfffe
	s_delay_alu instid0(SALU_CYCLE_2) | instskip(SKIP_1) | instid1(SALU_CYCLE_2)
	s_trunc_f32 s27, s27
	s_wait_alu 0xfffe
	s_fmamk_f32 s2, s27, 0xcf800000, s2
	s_cvt_u32_f32 s29, s27
	s_wait_alu 0xfffe
	s_delay_alu instid0(SALU_CYCLE_1) | instskip(SKIP_1) | instid1(SALU_CYCLE_2)
	s_cvt_u32_f32 s28, s2
	s_wait_alu 0xfffe
	s_mul_u64 s[34:35], s[30:31], s[28:29]
	s_wait_alu 0xfffe
	s_mul_hi_u32 s37, s28, s35
	s_mul_i32 s36, s28, s35
	s_mul_hi_u32 s2, s28, s34
	s_mul_i32 s33, s29, s34
	s_wait_alu 0xfffe
	s_add_nc_u64 s[36:37], s[2:3], s[36:37]
	s_mul_hi_u32 s27, s29, s34
	s_mul_hi_u32 s38, s29, s35
	s_add_co_u32 s2, s36, s33
	s_wait_alu 0xfffe
	s_add_co_ci_u32 s2, s37, s27
	s_mul_i32 s34, s29, s35
	s_add_co_ci_u32 s35, s38, 0
	s_wait_alu 0xfffe
	s_add_nc_u64 s[34:35], s[2:3], s[34:35]
	s_wait_alu 0xfffe
	v_add_co_u32 v4, s2, s28, s34
	s_delay_alu instid0(VALU_DEP_1) | instskip(SKIP_1) | instid1(VALU_DEP_1)
	s_cmp_lg_u32 s2, 0
	s_add_co_ci_u32 s29, s29, s35
	v_readfirstlane_b32 s28, v4
	s_wait_alu 0xfffe
	s_delay_alu instid0(VALU_DEP_1)
	s_mul_u64 s[30:31], s[30:31], s[28:29]
	s_wait_alu 0xfffe
	s_mul_hi_u32 s35, s28, s31
	s_mul_i32 s34, s28, s31
	s_mul_hi_u32 s2, s28, s30
	s_mul_i32 s33, s29, s30
	s_wait_alu 0xfffe
	s_add_nc_u64 s[34:35], s[2:3], s[34:35]
	s_mul_hi_u32 s27, s29, s30
	s_mul_hi_u32 s28, s29, s31
	s_wait_alu 0xfffe
	s_add_co_u32 s2, s34, s33
	s_add_co_ci_u32 s2, s35, s27
	s_mul_i32 s30, s29, s31
	s_add_co_ci_u32 s31, s28, 0
	s_wait_alu 0xfffe
	s_add_nc_u64 s[30:31], s[2:3], s[30:31]
	s_wait_alu 0xfffe
	v_add_co_u32 v4, s2, v4, s30
	s_delay_alu instid0(VALU_DEP_1) | instskip(SKIP_1) | instid1(VALU_DEP_1)
	s_cmp_lg_u32 s2, 0
	s_add_co_ci_u32 s2, s29, s31
	v_mul_hi_u32 v16, v10, v4
	s_wait_alu 0xfffe
	v_mad_co_u64_u32 v[6:7], null, v10, s2, 0
	v_mad_co_u64_u32 v[12:13], null, v11, v4, 0
	;; [unrolled: 1-line block ×3, first 2 shown]
	s_delay_alu instid0(VALU_DEP_3) | instskip(SKIP_1) | instid1(VALU_DEP_4)
	v_add_co_u32 v4, vcc_lo, v16, v6
	s_wait_alu 0xfffd
	v_add_co_ci_u32_e32 v6, vcc_lo, 0, v7, vcc_lo
	s_delay_alu instid0(VALU_DEP_2) | instskip(SKIP_1) | instid1(VALU_DEP_2)
	v_add_co_u32 v4, vcc_lo, v4, v12
	s_wait_alu 0xfffd
	v_add_co_ci_u32_e32 v4, vcc_lo, v6, v13, vcc_lo
	s_wait_alu 0xfffd
	v_add_co_ci_u32_e32 v6, vcc_lo, 0, v15, vcc_lo
	s_delay_alu instid0(VALU_DEP_2) | instskip(SKIP_1) | instid1(VALU_DEP_2)
	v_add_co_u32 v4, vcc_lo, v4, v14
	s_wait_alu 0xfffd
	v_add_co_ci_u32_e32 v12, vcc_lo, 0, v6, vcc_lo
	s_delay_alu instid0(VALU_DEP_2) | instskip(SKIP_1) | instid1(VALU_DEP_3)
	v_mul_lo_u32 v13, s25, v4
	v_mad_co_u64_u32 v[6:7], null, s24, v4, 0
	v_mul_lo_u32 v14, s24, v12
	s_delay_alu instid0(VALU_DEP_2) | instskip(NEXT) | instid1(VALU_DEP_2)
	v_sub_co_u32 v6, vcc_lo, v10, v6
	v_add3_u32 v7, v7, v14, v13
	s_delay_alu instid0(VALU_DEP_1) | instskip(SKIP_1) | instid1(VALU_DEP_1)
	v_sub_nc_u32_e32 v13, v11, v7
	s_wait_alu 0xfffd
	v_subrev_co_ci_u32_e64 v13, s2, s25, v13, vcc_lo
	v_add_co_u32 v14, s2, v4, 2
	s_wait_alu 0xf1ff
	v_add_co_ci_u32_e64 v15, s2, 0, v12, s2
	v_sub_co_u32 v16, s2, v6, s24
	v_sub_co_ci_u32_e32 v7, vcc_lo, v11, v7, vcc_lo
	s_wait_alu 0xf1ff
	v_subrev_co_ci_u32_e64 v13, s2, 0, v13, s2
	s_delay_alu instid0(VALU_DEP_3) | instskip(NEXT) | instid1(VALU_DEP_3)
	v_cmp_le_u32_e32 vcc_lo, s24, v16
	v_cmp_eq_u32_e64 s2, s25, v7
	s_wait_alu 0xfffd
	v_cndmask_b32_e64 v16, 0, -1, vcc_lo
	v_cmp_le_u32_e32 vcc_lo, s25, v13
	s_wait_alu 0xfffd
	v_cndmask_b32_e64 v17, 0, -1, vcc_lo
	v_cmp_le_u32_e32 vcc_lo, s24, v6
	;; [unrolled: 3-line block ×3, first 2 shown]
	s_wait_alu 0xfffd
	v_cndmask_b32_e64 v18, 0, -1, vcc_lo
	v_cmp_eq_u32_e32 vcc_lo, s25, v13
	s_wait_alu 0xf1ff
	s_delay_alu instid0(VALU_DEP_2)
	v_cndmask_b32_e64 v6, v18, v6, s2
	s_wait_alu 0xfffd
	v_cndmask_b32_e32 v13, v17, v16, vcc_lo
	v_add_co_u32 v16, vcc_lo, v4, 1
	s_wait_alu 0xfffd
	v_add_co_ci_u32_e32 v17, vcc_lo, 0, v12, vcc_lo
	s_delay_alu instid0(VALU_DEP_3) | instskip(SKIP_1) | instid1(VALU_DEP_2)
	v_cmp_ne_u32_e32 vcc_lo, 0, v13
	s_wait_alu 0xfffd
	v_dual_cndmask_b32 v14, v16, v14 :: v_dual_cndmask_b32 v7, v17, v15
	v_cmp_ne_u32_e32 vcc_lo, 0, v6
	s_wait_alu 0xfffd
	s_delay_alu instid0(VALU_DEP_2) | instskip(NEXT) | instid1(VALU_DEP_3)
	v_cndmask_b32_e32 v13, v12, v7, vcc_lo
	v_cndmask_b32_e32 v12, v4, v14, vcc_lo
.LBB0_4:                                ;   in Loop: Header=BB0_2 Depth=1
	s_wait_alu 0xfffe
	s_and_not1_saveexec_b32 s2, s26
	s_cbranch_execz .LBB0_6
; %bb.5:                                ;   in Loop: Header=BB0_2 Depth=1
	v_cvt_f32_u32_e32 v4, s24
	s_sub_co_i32 s26, 0, s24
	v_mov_b32_e32 v13, v5
	s_delay_alu instid0(VALU_DEP_2) | instskip(NEXT) | instid1(TRANS32_DEP_1)
	v_rcp_iflag_f32_e32 v4, v4
	v_mul_f32_e32 v4, 0x4f7ffffe, v4
	s_delay_alu instid0(VALU_DEP_1) | instskip(SKIP_1) | instid1(VALU_DEP_1)
	v_cvt_u32_f32_e32 v4, v4
	s_wait_alu 0xfffe
	v_mul_lo_u32 v6, s26, v4
	s_delay_alu instid0(VALU_DEP_1) | instskip(NEXT) | instid1(VALU_DEP_1)
	v_mul_hi_u32 v6, v4, v6
	v_add_nc_u32_e32 v4, v4, v6
	s_delay_alu instid0(VALU_DEP_1) | instskip(NEXT) | instid1(VALU_DEP_1)
	v_mul_hi_u32 v4, v10, v4
	v_mul_lo_u32 v6, v4, s24
	v_add_nc_u32_e32 v7, 1, v4
	s_delay_alu instid0(VALU_DEP_2) | instskip(NEXT) | instid1(VALU_DEP_1)
	v_sub_nc_u32_e32 v6, v10, v6
	v_subrev_nc_u32_e32 v12, s24, v6
	v_cmp_le_u32_e32 vcc_lo, s24, v6
	s_wait_alu 0xfffd
	s_delay_alu instid0(VALU_DEP_2) | instskip(SKIP_1) | instid1(VALU_DEP_2)
	v_cndmask_b32_e32 v6, v6, v12, vcc_lo
	v_cndmask_b32_e32 v4, v4, v7, vcc_lo
	v_cmp_le_u32_e32 vcc_lo, s24, v6
	s_delay_alu instid0(VALU_DEP_2) | instskip(SKIP_1) | instid1(VALU_DEP_1)
	v_add_nc_u32_e32 v7, 1, v4
	s_wait_alu 0xfffd
	v_cndmask_b32_e32 v12, v4, v7, vcc_lo
.LBB0_6:                                ;   in Loop: Header=BB0_2 Depth=1
	s_wait_alu 0xfffe
	s_or_b32 exec_lo, exec_lo, s2
	v_mul_lo_u32 v4, v13, s24
	s_delay_alu instid0(VALU_DEP_2)
	v_mul_lo_u32 v14, v12, s25
	s_load_b64 s[26:27], s[18:19], 0x0
	v_mad_co_u64_u32 v[6:7], null, v12, s24, 0
	s_load_b64 s[24:25], s[16:17], 0x0
	s_add_nc_u64 s[20:21], s[20:21], 1
	s_add_nc_u64 s[16:17], s[16:17], 8
	s_wait_alu 0xfffe
	v_cmp_ge_u64_e64 s2, s[20:21], s[10:11]
	s_add_nc_u64 s[18:19], s[18:19], 8
	s_add_nc_u64 s[22:23], s[22:23], 8
	v_add3_u32 v4, v7, v14, v4
	v_sub_co_u32 v6, vcc_lo, v10, v6
	s_wait_alu 0xfffd
	s_delay_alu instid0(VALU_DEP_2) | instskip(SKIP_2) | instid1(VALU_DEP_1)
	v_sub_co_ci_u32_e32 v4, vcc_lo, v11, v4, vcc_lo
	s_and_b32 vcc_lo, exec_lo, s2
	s_wait_kmcnt 0x0
	v_mul_lo_u32 v7, s26, v4
	v_mul_lo_u32 v10, s27, v6
	v_mad_co_u64_u32 v[1:2], null, s26, v6, v[1:2]
	v_mul_lo_u32 v4, s24, v4
	v_mul_lo_u32 v11, s25, v6
	v_mad_co_u64_u32 v[8:9], null, s24, v6, v[8:9]
	s_delay_alu instid0(VALU_DEP_4) | instskip(NEXT) | instid1(VALU_DEP_2)
	v_add3_u32 v2, v10, v2, v7
	v_add3_u32 v9, v11, v9, v4
	s_wait_alu 0xfffe
	s_cbranch_vccnz .LBB0_8
; %bb.7:                                ;   in Loop: Header=BB0_2 Depth=1
	v_dual_mov_b32 v10, v12 :: v_dual_mov_b32 v11, v13
	s_branch .LBB0_2
.LBB0_8:
	s_load_b64 s[0:1], s[0:1], 0x28
	v_mul_hi_u32 v4, 0xaaaaaaab, v3
                                        ; implicit-def: $vgpr10
	s_delay_alu instid0(VALU_DEP_1) | instskip(NEXT) | instid1(VALU_DEP_1)
	v_lshrrev_b32_e32 v4, 1, v4
	v_lshl_add_u32 v5, v4, 1, v4
	v_mul_hi_u32 v4, 0x3483484, v0
	s_delay_alu instid0(VALU_DEP_2) | instskip(SKIP_3) | instid1(VALU_DEP_1)
	v_sub_nc_u32_e32 v3, v3, v5
	s_wait_kmcnt 0x0
	v_cmp_gt_u64_e32 vcc_lo, s[0:1], v[12:13]
	v_cmp_le_u64_e64 s0, s[0:1], v[12:13]
	s_and_saveexec_b32 s1, s0
	s_wait_alu 0xfffe
	s_xor_b32 s0, exec_lo, s1
; %bb.9:
	v_mul_u32_u24_e32 v1, 0x4e, v4
                                        ; implicit-def: $vgpr4
	s_delay_alu instid0(VALU_DEP_1)
	v_sub_nc_u32_e32 v10, v0, v1
                                        ; implicit-def: $vgpr0
                                        ; implicit-def: $vgpr1_vgpr2
; %bb.10:
	s_wait_alu 0xfffe
	s_or_saveexec_b32 s1, s0
	v_mul_u32_u24_e32 v3, 0x35b, v3
	s_lshl_b64 s[2:3], s[10:11], 3
	s_delay_alu instid0(VALU_DEP_1)
	v_lshlrev_b32_e32 v14, 2, v3
	s_wait_alu 0xfffe
	s_xor_b32 exec_lo, exec_lo, s1
	s_cbranch_execz .LBB0_12
; %bb.11:
	s_add_nc_u64 s[10:11], s[12:13], s[2:3]
	v_lshlrev_b64_e32 v[1:2], 2, v[1:2]
	s_load_b64 s[10:11], s[10:11], 0x0
	s_wait_kmcnt 0x0
	v_mul_lo_u32 v3, s11, v12
	v_mul_lo_u32 v7, s10, v13
	v_mad_co_u64_u32 v[5:6], null, s10, v12, 0
	s_delay_alu instid0(VALU_DEP_1) | instskip(SKIP_1) | instid1(VALU_DEP_2)
	v_add3_u32 v6, v6, v7, v3
	v_mul_u32_u24_e32 v7, 0x4e, v4
	v_lshlrev_b64_e32 v[3:4], 2, v[5:6]
	s_delay_alu instid0(VALU_DEP_2) | instskip(NEXT) | instid1(VALU_DEP_2)
	v_sub_nc_u32_e32 v10, v0, v7
	v_add_co_u32 v0, s0, s4, v3
	s_wait_alu 0xf1ff
	s_delay_alu instid0(VALU_DEP_3) | instskip(NEXT) | instid1(VALU_DEP_3)
	v_add_co_ci_u32_e64 v3, s0, s5, v4, s0
	v_lshlrev_b32_e32 v4, 2, v10
	s_delay_alu instid0(VALU_DEP_3) | instskip(SKIP_1) | instid1(VALU_DEP_3)
	v_add_co_u32 v0, s0, v0, v1
	s_wait_alu 0xf1ff
	v_add_co_ci_u32_e64 v1, s0, v3, v2, s0
	s_delay_alu instid0(VALU_DEP_2) | instskip(SKIP_1) | instid1(VALU_DEP_2)
	v_add_co_u32 v0, s0, v0, v4
	s_wait_alu 0xf1ff
	v_add_co_ci_u32_e64 v1, s0, 0, v1, s0
	s_clause 0xa
	global_load_b32 v2, v[0:1], off
	global_load_b32 v3, v[0:1], off offset:312
	global_load_b32 v5, v[0:1], off offset:624
	;; [unrolled: 1-line block ×10, first 2 shown]
	v_add3_u32 v1, 0, v14, v4
	s_delay_alu instid0(VALU_DEP_1)
	v_add_nc_u32_e32 v4, 0x400, v1
	v_add_nc_u32_e32 v19, 0x600, v1
	;; [unrolled: 1-line block ×3, first 2 shown]
	s_wait_loadcnt 0x9
	ds_store_2addr_b32 v1, v2, v3 offset1:78
	s_wait_loadcnt 0x7
	ds_store_2addr_b32 v1, v5, v6 offset0:156 offset1:234
	s_wait_loadcnt 0x5
	ds_store_2addr_b32 v4, v7, v11 offset0:56 offset1:134
	;; [unrolled: 2-line block ×4, first 2 shown]
	s_wait_loadcnt 0x0
	ds_store_b32 v1, v0 offset:3120
.LBB0_12:
	s_or_b32 exec_lo, exec_lo, s1
	v_lshlrev_b32_e32 v11, 2, v10
	v_add_nc_u32_e32 v28, 0, v14
	global_wb scope:SCOPE_SE
	s_wait_dscnt 0x0
	s_barrier_signal -1
	s_barrier_wait -1
	v_add_nc_u32_e32 v27, 0, v11
	v_add_nc_u32_e32 v29, v28, v11
	global_inv scope:SCOPE_SE
	s_add_nc_u64 s[2:3], s[14:15], s[2:3]
	s_mov_b32 s1, exec_lo
	v_add_nc_u32_e32 v30, v27, v14
	ds_load_b32 v22, v29
	v_add_nc_u32_e32 v24, 0xa00, v30
	v_add_nc_u32_e32 v32, 0x200, v30
	;; [unrolled: 1-line block ×4, first 2 shown]
	ds_load_2addr_b32 v[18:19], v30 offset0:66 offset1:132
	ds_load_2addr_b32 v[0:1], v24 offset0:86 offset1:152
	v_add_nc_u32_e32 v33, 0x600, v30
	ds_load_2addr_b32 v[16:17], v32 offset0:70 offset1:136
	ds_load_2addr_b32 v[2:3], v20 offset0:82 offset1:148
	;; [unrolled: 1-line block ×4, first 2 shown]
	global_wb scope:SCOPE_SE
	s_wait_dscnt 0x0
	s_barrier_signal -1
	s_barrier_wait -1
	global_inv scope:SCOPE_SE
	v_lshrrev_b32_e32 v43, 16, v22
	v_pk_add_f16 v37, v18, v1 neg_lo:[0,1] neg_hi:[0,1]
	v_pk_add_f16 v42, v1, v18
	v_pk_add_f16 v36, v19, v0 neg_lo:[0,1] neg_hi:[0,1]
	v_pk_add_f16 v41, v0, v19
	v_pk_add_f16 v35, v16, v3 neg_lo:[0,1] neg_hi:[0,1]
	v_pk_mul_f16 v15, 0xba95, v37 op_sel_hi:[0,1]
	v_pk_add_f16 v40, v3, v16
	v_pk_mul_f16 v31, 0xbb7b, v36 op_sel_hi:[0,1]
	v_pk_add_f16 v26, v17, v2 neg_lo:[0,1] neg_hi:[0,1]
	v_pk_mul_f16 v47, 0xb3a8, v35 op_sel_hi:[0,1]
	v_pk_fma_f16 v49, 0x388b, v42, v15 op_sel:[0,0,1] op_sel_hi:[0,1,0]
	v_pk_fma_f16 v52, 0x388b, v42, v15 op_sel:[0,0,1] op_sel_hi:[0,1,0] neg_lo:[0,0,1] neg_hi:[0,0,1]
	v_pk_fma_f16 v44, 0xb5ac, v41, v31 op_sel:[0,0,1] op_sel_hi:[0,1,0]
	v_pk_add_f16 v39, v2, v17
	v_pk_add_f16 v25, v6, v5 neg_lo:[0,1] neg_hi:[0,1]
	v_lshrrev_b32_e32 v15, 16, v49
	v_pk_mul_f16 v50, 0x394e, v26 op_sel_hi:[0,1]
	v_pk_fma_f16 v45, 0xb5ac, v41, v31 op_sel:[0,0,1] op_sel_hi:[0,1,0] neg_lo:[0,0,1] neg_hi:[0,0,1]
	v_pk_fma_f16 v46, 0xbbc4, v40, v47 op_sel:[0,0,1] op_sel_hi:[0,1,0]
	v_add_f16_e32 v31, v22, v52
	v_lshrrev_b32_e32 v51, 16, v44
	v_add_f16_e32 v15, v43, v15
	v_pk_add_f16 v38, v5, v6
	v_pk_add_f16 v23, v7, v4 neg_lo:[0,1] neg_hi:[0,1]
	v_pk_mul_f16 v53, 0x3bf1, v25 op_sel_hi:[0,1]
	v_pk_fma_f16 v47, 0xbbc4, v40, v47 op_sel:[0,0,1] op_sel_hi:[0,1,0] neg_lo:[0,0,1] neg_hi:[0,0,1]
	v_pk_fma_f16 v48, 0xb9fd, v39, v50 op_sel:[0,0,1] op_sel_hi:[0,1,0]
	v_lshrrev_b32_e32 v54, 16, v46
	v_add_f16_e32 v31, v45, v31
	v_add_f16_e32 v15, v51, v15
	v_pk_add_f16 v34, v4, v7
	v_pk_mul_f16 v55, 0x3770, v23 op_sel_hi:[0,1]
	v_pk_fma_f16 v50, 0xb9fd, v39, v50 op_sel:[0,0,1] op_sel_hi:[0,1,0] neg_lo:[0,0,1] neg_hi:[0,0,1]
	v_pk_fma_f16 v51, 0x2fb7, v38, v53 op_sel:[0,0,1] op_sel_hi:[0,1,0]
	v_lshrrev_b32_e32 v56, 16, v48
	v_add_f16_e32 v31, v47, v31
	v_add_f16_e32 v15, v54, v15
	v_pk_fma_f16 v54, 0x2fb7, v38, v53 op_sel:[0,0,1] op_sel_hi:[0,1,0] neg_lo:[0,0,1] neg_hi:[0,0,1]
	v_pk_fma_f16 v53, 0x3b15, v34, v55 op_sel:[0,0,1] op_sel_hi:[0,1,0]
	v_lshrrev_b32_e32 v57, 16, v51
	v_add_f16_e32 v31, v50, v31
	v_add_f16_e32 v15, v56, v15
	v_pk_fma_f16 v55, 0x3b15, v34, v55 op_sel:[0,0,1] op_sel_hi:[0,1,0] neg_lo:[0,0,1] neg_hi:[0,0,1]
	v_lshrrev_b32_e32 v56, 16, v53
	s_delay_alu instid0(VALU_DEP_4) | instskip(NEXT) | instid1(VALU_DEP_4)
	v_add_f16_e32 v31, v54, v31
	v_add_f16_e32 v57, v57, v15
	s_delay_alu instid0(VALU_DEP_2) | instskip(NEXT) | instid1(VALU_DEP_2)
	v_add_f16_e32 v15, v55, v31
	v_add_f16_e32 v31, v56, v57
	v_cmpx_gt_u32_e32 0x42, v10
	s_cbranch_execz .LBB0_14
; %bb.13:
	v_lshrrev_b32_e32 v56, 16, v42
	v_lshrrev_b32_e32 v57, 16, v41
	;; [unrolled: 1-line block ×5, first 2 shown]
	v_mul_f16_e32 v61, 0xb9fd, v56
	v_mul_f16_e32 v65, 0x2fb7, v57
	v_lshrrev_b32_e32 v64, 16, v36
	v_mul_f16_e32 v68, 0x388b, v58
	v_mul_f16_e32 v69, 0xb94e, v63
	v_fmamk_f16 v66, v37, 0x394e, v61
	v_fmamk_f16 v70, v36, 0xbbf1, v65
	v_lshrrev_b32_e32 v67, 16, v35
	v_mul_f16_e32 v71, 0xbbc4, v59
	v_mul_f16_e32 v72, 0x3bf1, v64
	v_add_f16_e32 v66, v43, v66
	v_fmamk_f16 v73, v35, 0x3a95, v68
	v_fmamk_f16 v74, v42, 0xb9fd, v69
	;; [unrolled: 1-line block ×4, first 2 shown]
	v_add_f16_e32 v66, v70, v66
	v_mul_f16_e32 v70, 0xba95, v67
	v_add_f16_e32 v74, v22, v74
	v_mul_f16_e32 v84, 0xbb7b, v63
	v_lshrrev_b32_e32 v60, 16, v38
	v_add_f16_e32 v66, v73, v66
	v_lshrrev_b32_e32 v73, 16, v26
	v_fmamk_f16 v78, v40, 0x388b, v70
	v_add_f16_e32 v74, v76, v74
	v_lshrrev_b32_e32 v76, 16, v25
	v_add_f16_e32 v66, v75, v66
	v_mul_f16_e32 v75, 0x33a8, v73
	v_fmamk_f16 v87, v42, 0xb5ac, v84
	v_mul_f16_e32 v88, 0x394e, v64
	v_bfi_b32 v44, 0xffff, v44, v45
	v_bfi_b32 v45, 0xffff, v46, v47
	v_bfi_b32 v47, 0xffff, v51, v54
	v_fma_f16 v51, v42, 0xb9fd, -v69
	v_lshrrev_b32_e32 v62, 16, v34
	v_mul_f16_e32 v77, 0x3b15, v60
	v_add_f16_e32 v74, v78, v74
	v_fmamk_f16 v78, v39, 0xbbc4, v75
	v_mul_f16_e32 v81, 0x3770, v76
	v_add_f16_e32 v87, v22, v87
	v_fmamk_f16 v91, v41, 0xb9fd, v88
	v_mul_f16_e32 v92, 0x3770, v67
	v_fmac_f16_e32 v61, 0xb94e, v37
	v_add_f16_e32 v51, v22, v51
	v_fma_f16 v54, v41, 0x2fb7, -v72
	v_fmamk_f16 v79, v25, 0xb770, v77
	v_mul_f16_e32 v80, 0xb5ac, v62
	v_add_f16_e32 v74, v78, v74
	v_fmamk_f16 v78, v38, 0x3b15, v81
	v_mul_f16_e32 v83, 0xb5ac, v56
	v_add_f16_e32 v87, v91, v87
	v_fmamk_f16 v91, v40, 0x3b15, v92
	v_mul_f16_e32 v94, 0xbbf1, v73
	v_bfi_b32 v46, 0xffff, v48, v50
	v_add_f16_e32 v48, v43, v61
	v_fmac_f16_e32 v65, 0x3bf1, v36
	v_add_f16_e32 v51, v54, v51
	v_fma_f16 v54, v40, 0x388b, -v70
	v_add_f16_e32 v66, v79, v66
	v_fmamk_f16 v79, v23, 0x3b7b, v80
	v_lshrrev_b32_e32 v82, 16, v23
	v_add_f16_e32 v74, v78, v74
	v_fmamk_f16 v78, v37, 0x3b7b, v83
	v_mul_f16_e32 v85, 0xb9fd, v57
	v_add_f16_e32 v87, v91, v87
	v_fmamk_f16 v91, v39, 0x2fb7, v94
	v_mul_f16_e32 v96, 0x33a8, v76
	v_add_f16_e32 v48, v65, v48
	v_fmac_f16_e32 v68, 0xba95, v35
	v_add_f16_e32 v51, v54, v51
	v_fma_f16 v54, v39, 0xbbc4, -v75
	v_fmac_f16_e32 v83, 0xbb7b, v37
	v_add_f16_e32 v66, v79, v66
	v_mul_f16_e32 v79, 0xbb7b, v82
	v_add_f16_e32 v78, v43, v78
	v_fmamk_f16 v89, v36, 0xb94e, v85
	v_mul_f16_e32 v90, 0x3b15, v58
	v_add_f16_e32 v87, v91, v87
	v_fmamk_f16 v91, v38, 0xbbc4, v96
	v_mul_f16_e32 v56, 0x2fb7, v56
	v_add_f16_e32 v48, v68, v48
	v_fmac_f16_e32 v71, 0x33a8, v26
	v_add_f16_e32 v51, v54, v51
	v_fma_f16 v54, v38, 0x3b15, -v81
	v_add_f16_e32 v69, v43, v83
	v_fmac_f16_e32 v85, 0x394e, v36
	v_fma_f16 v70, v42, 0xb5ac, -v84
	v_add_f16_e32 v78, v89, v78
	v_fmamk_f16 v89, v35, 0xb770, v90
	v_mul_f16_e32 v93, 0x2fb7, v59
	v_add_f16_e32 v87, v91, v87
	v_fmamk_f16 v91, v37, 0x3bf1, v56
	v_mul_f16_e32 v57, 0xbbc4, v57
	v_add_f16_e32 v48, v71, v48
	v_pk_add_f16 v18, v22, v18
	v_add_f16_e32 v51, v54, v51
	v_fma_f16 v54, v34, 0xb5ac, -v79
	v_add_f16_e32 v69, v85, v69
	v_fmac_f16_e32 v90, 0x3770, v35
	v_add_f16_e32 v70, v22, v70
	v_fma_f16 v71, v41, 0xb9fd, -v88
	v_fmac_f16_e32 v56, 0xbbf1, v37
	v_add_f16_e32 v78, v89, v78
	v_fmamk_f16 v89, v26, 0x3bf1, v93
	v_mul_f16_e32 v95, 0xbbc4, v60
	v_add_f16_e32 v91, v43, v91
	v_fmamk_f16 v100, v36, 0x33a8, v57
	v_mul_f16_e32 v58, 0xb5ac, v58
	v_add_f16_e32 v51, v54, v51
	v_add_f16_e32 v54, v90, v69
	v_fmac_f16_e32 v93, 0xbbf1, v26
	v_add_f16_e32 v69, v71, v70
	v_fma_f16 v70, v40, 0x3b15, -v92
	v_add_f16_e32 v43, v43, v56
	v_fmac_f16_e32 v57, 0xb3a8, v36
	v_pk_add_f16 v18, v18, v19
	v_add_f16_e32 v78, v89, v78
	v_fmamk_f16 v89, v25, 0xb3a8, v95
	v_mul_f16_e32 v97, 0x388b, v62
	v_add_f16_e32 v91, v100, v91
	v_fmamk_f16 v100, v35, 0xbb7b, v58
	v_mul_f16_e32 v59, 0x3b15, v59
	v_add_f16_e32 v54, v93, v54
	v_fmac_f16_e32 v95, 0x33a8, v25
	v_add_f16_e32 v56, v70, v69
	v_fma_f16 v69, v39, 0x2fb7, -v94
	v_add_f16_e32 v43, v57, v43
	v_fmac_f16_e32 v58, 0x3b7b, v35
	v_pk_add_f16 v16, v18, v16
	v_add_f16_e32 v78, v89, v78
	v_fmamk_f16 v89, v23, 0xba95, v97
	v_mul_f16_e32 v63, 0xbbf1, v63
	v_mul_f16_e32 v98, 0x3a95, v82
	v_add_f16_e32 v91, v100, v91
	v_fmamk_f16 v100, v26, 0xb770, v59
	v_mul_f16_e32 v60, 0x388b, v60
	v_add_f16_e32 v54, v95, v54
	v_add_f16_e32 v19, v69, v56
	v_fma_f16 v56, v38, 0xbbc4, -v96
	v_add_f16_e32 v43, v58, v43
	v_fmac_f16_e32 v59, 0x3770, v26
	v_fmac_f16_e32 v97, 0x3a95, v23
	v_pk_add_f16 v16, v16, v17
	v_mul_f16_e32 v64, 0xb3a8, v64
	v_add_f16_e32 v91, v100, v91
	v_fmamk_f16 v100, v25, 0x3a95, v60
	v_bfi_b32 v49, 0xffff, v49, v52
	v_pk_mul_f16 v52, 0xb770, v37 op_sel_hi:[0,1]
	v_add_f16_e32 v18, v56, v19
	v_fma_f16 v19, v34, 0x388b, -v98
	v_add_f16_e32 v43, v59, v43
	v_fmac_f16_e32 v60, 0xba95, v25
	v_add_f16_e32 v17, v97, v54
	v_fma_f16 v54, v42, 0x2fb7, -v63
	v_pk_add_f16 v6, v16, v6
	v_mul_f16_e32 v67, 0x3b7b, v67
	v_bfi_b32 v50, 0xffff, v53, v55
	v_pk_mul_f16 v53, 0xba95, v36 op_sel_hi:[0,1]
	v_add_f16_e32 v18, v19, v18
	v_add_f16_e32 v16, v60, v43
	;; [unrolled: 1-line block ×3, first 2 shown]
	v_fma_f16 v43, v41, 0xbbc4, -v64
	v_pk_add_f16 v6, v6, v7
	v_pk_fma_f16 v7, 0x3b15, v42, v52 op_sel:[0,0,1] op_sel_hi:[0,1,0]
	v_pk_fma_f16 v52, 0x3b15, v42, v52 op_sel:[0,0,1] op_sel_hi:[0,1,0] neg_lo:[0,0,1] neg_hi:[0,0,1]
	v_mul_f16_e32 v73, 0x3770, v73
	v_pk_mul_f16 v55, 0xbbf1, v35 op_sel_hi:[0,1]
	v_add_f16_e32 v19, v43, v19
	v_fma_f16 v43, v40, 0xb5ac, -v67
	v_pk_add_f16 v4, v6, v4
	v_bfi_b32 v6, 0xffff, v7, v52
	v_pk_fma_f16 v54, 0x388b, v41, v53 op_sel:[0,0,1] op_sel_hi:[0,1,0]
	v_pk_fma_f16 v53, 0x388b, v41, v53 op_sel:[0,0,1] op_sel_hi:[0,1,0] neg_lo:[0,0,1] neg_hi:[0,0,1]
	v_mul_f16_e32 v76, 0xba95, v76
	v_pk_mul_f16 v61, 0xbb7b, v26 op_sel_hi:[0,1]
	v_add_f16_e32 v19, v43, v19
	v_fma_f16 v43, v39, 0x3b15, -v73
	v_pk_add_f16 v4, v4, v5
	v_pk_add_f16 v5, v22, v6
	v_bfi_b32 v6, 0xffff, v54, v53
	v_pk_fma_f16 v56, 0x2fb7, v40, v55 op_sel:[0,0,1] op_sel_hi:[0,1,0]
	v_pk_fma_f16 v55, 0x2fb7, v40, v55 op_sel:[0,0,1] op_sel_hi:[0,1,0] neg_lo:[0,0,1] neg_hi:[0,0,1]
	v_mul_f16_e32 v82, 0xb94e, v82
	v_pk_mul_f16 v65, 0xb94e, v25 op_sel_hi:[0,1]
	v_add_f16_e32 v19, v43, v19
	v_fma_f16 v43, v38, 0x388b, -v76
	v_pk_add_f16 v2, v4, v2
	v_pk_add_f16 v4, v6, v5
	v_bfi_b32 v5, 0xffff, v56, v55
	v_pk_fma_f16 v6, 0xb5ac, v39, v61 op_sel:[0,0,1] op_sel_hi:[0,1,0]
	v_pk_fma_f16 v57, 0xb5ac, v39, v61 op_sel:[0,0,1] op_sel_hi:[0,1,0] neg_lo:[0,0,1] neg_hi:[0,0,1]
	v_add_f16_e32 v19, v43, v19
	v_fma_f16 v43, v34, 0xb9fd, -v82
	v_pk_add_f16 v2, v2, v3
	v_pk_add_f16 v3, v5, v4
	v_bfi_b32 v4, 0xffff, v6, v57
	v_pk_fma_f16 v5, 0xb9fd, v38, v65 op_sel:[0,0,1] op_sel_hi:[0,1,0]
	v_pk_fma_f16 v58, 0xb9fd, v38, v65 op_sel:[0,0,1] op_sel_hi:[0,1,0] neg_lo:[0,0,1] neg_hi:[0,0,1]
	v_pk_mul_f16 v68, 0xb3a8, v23 op_sel_hi:[0,1]
	v_add_f16_e32 v19, v43, v19
	v_mul_u32_u24_e32 v43, 48, v10
	v_pk_add_f16 v0, v2, v0
	v_pk_add_f16 v2, v4, v3
	v_bfi_b32 v3, 0xffff, v5, v58
	v_pk_add_f16 v4, v22, v49
	v_fmamk_f16 v99, v42, 0x2fb7, v63
	v_fmamk_f16 v101, v41, 0xbbc4, v64
	v_pk_mul_f16 v42, 0xbbc4, v42 op_sel_hi:[0,1]
	v_add3_u32 v27, v27, v43, v14
	v_pk_add_f16 v0, v0, v1
	v_pk_add_f16 v1, v3, v2
	;; [unrolled: 1-line block ×3, first 2 shown]
	v_pk_mul_f16 v4, 0x3b15, v41 op_sel_hi:[0,1]
	v_pk_fma_f16 v41, 0xbbc4, v34, v68 op_sel:[0,0,1] op_sel_hi:[0,1,0]
	v_pk_fma_f16 v43, 0xbbc4, v34, v68 op_sel:[0,0,1] op_sel_hi:[0,1,0] neg_lo:[0,0,1] neg_hi:[0,0,1]
	v_add_f16_e32 v99, v22, v99
	v_pk_fma_f16 v3, 0xb3a8, v37, v42 op_sel:[0,0,1] op_sel_hi:[0,1,0]
	v_pk_add_f16 v2, v45, v2
	v_pk_fma_f16 v45, 0x3770, v36, v4 op_sel:[0,0,1] op_sel_hi:[0,1,0]
	v_bfi_b32 v49, 0xffff, v41, v43
	v_add_f16_e32 v99, v101, v99
	v_fmamk_f16 v101, v40, 0xb5ac, v67
	v_alignbit_b32 v44, s0, v3, 16
	v_pk_mul_f16 v40, 0xb9fd, v40 op_sel_hi:[0,1]
	v_pk_add_f16 v1, v49, v1
	v_alignbit_b32 v49, s0, v22, 16
	v_pk_fma_f16 v37, 0xb3a8, v37, v42 op_sel:[0,0,1] op_sel_hi:[0,1,0] neg_lo:[0,1,0] neg_hi:[0,1,0]
	v_add_f16_e32 v99, v101, v99
	v_fmamk_f16 v101, v39, 0x3b15, v73
	v_pk_add_f16 v2, v46, v2
	v_pk_add_f16 v44, v22, v44
	v_alignbit_b32 v46, s0, v45, 16
	v_pk_fma_f16 v59, 0xb94e, v35, v40 op_sel:[0,0,1] op_sel_hi:[0,1,0]
	v_pk_mul_f16 v39, 0x388b, v39 op_sel_hi:[0,1]
	v_pk_add_f16 v3, v49, v3
	v_pk_add_f16 v37, v22, v37 op_sel:[1,0] op_sel_hi:[0,1]
	v_pk_fma_f16 v4, 0x3770, v36, v4 op_sel:[0,0,1] op_sel_hi:[0,1,0] neg_lo:[0,1,0] neg_hi:[0,1,0]
	v_bfi_b32 v7, 0xffff, v52, v7
	v_add_f16_e32 v99, v101, v99
	v_fmamk_f16 v101, v38, 0x388b, v76
	v_pk_add_f16 v2, v47, v2
	v_pk_add_f16 v44, v46, v44
	v_alignbit_b32 v46, s0, v59, 16
	v_pk_fma_f16 v47, 0x3a95, v26, v39 op_sel:[0,0,1] op_sel_hi:[0,1,0]
	v_pk_mul_f16 v38, 0xb5ac, v38 op_sel_hi:[0,1]
	v_pk_add_f16 v3, v45, v3
	v_pk_add_f16 v4, v4, v37
	v_pk_fma_f16 v35, 0xb94e, v35, v40 op_sel:[0,0,1] op_sel_hi:[0,1,0] neg_lo:[0,1,0] neg_hi:[0,1,0]
	v_pk_add_f16 v7, v22, v7
	v_bfi_b32 v22, 0xffff, v53, v54
	v_fmamk_f16 v86, v34, 0xb5ac, v79
	v_fmamk_f16 v102, v34, 0x388b, v98
	v_add_f16_e32 v99, v101, v99
	v_fmamk_f16 v101, v34, 0xb9fd, v82
	v_pk_add_f16 v42, v46, v44
	v_alignbit_b32 v44, s0, v47, 16
	v_pk_fma_f16 v46, 0xbb7b, v25, v38 op_sel:[0,0,1] op_sel_hi:[0,1,0]
	v_pk_mul_f16 v34, 0x2fb7, v34 op_sel_hi:[0,1]
	v_pk_add_f16 v3, v59, v3
	v_pk_add_f16 v4, v35, v4
	v_pk_fma_f16 v26, 0x3a95, v26, v39 op_sel:[0,0,1] op_sel_hi:[0,1,0] neg_lo:[0,1,0] neg_hi:[0,1,0]
	v_pk_add_f16 v7, v22, v7
	v_bfi_b32 v22, 0xffff, v55, v56
	v_mul_f16_e32 v62, 0xb9fd, v62
	v_fmac_f16_e32 v77, 0x3770, v25
	v_pk_add_f16 v36, v44, v42
	v_alignbit_b32 v42, s0, v46, 16
	v_pk_fma_f16 v35, 0x3bf1, v23, v34 op_sel:[0,0,1] op_sel_hi:[0,1,0]
	v_pk_add_f16 v3, v47, v3
	v_pk_add_f16 v4, v26, v4
	v_pk_fma_f16 v25, 0xbb7b, v25, v38 op_sel:[0,0,1] op_sel_hi:[0,1,0] neg_lo:[0,1,0] neg_hi:[0,1,0]
	v_pk_add_f16 v7, v22, v7
	v_bfi_b32 v6, 0xffff, v57, v6
	v_add_f16_e32 v91, v100, v91
	v_fmamk_f16 v100, v23, 0x394e, v62
	v_fmac_f16_e32 v80, 0xbb7b, v23
	v_fmac_f16_e32 v62, 0xb94e, v23
	v_pk_add_f16 v36, v42, v36
	v_alignbit_b32 v26, s0, v35, 16
	v_pk_add_f16 v3, v46, v3
	v_pk_add_f16 v4, v25, v4
	v_pk_fma_f16 v23, 0x3bf1, v23, v34 op_sel:[0,0,1] op_sel_hi:[0,1,0] neg_lo:[0,1,0] neg_hi:[0,1,0]
	v_add_f16_e32 v48, v77, v48
	v_pk_add_f16 v6, v6, v7
	v_bfi_b32 v5, 0xffff, v58, v5
	v_add_f16_e32 v74, v86, v74
	v_add_f16_e32 v78, v89, v78
	;; [unrolled: 1-line block ×5, first 2 shown]
	v_pk_add_f16 v25, v26, v36
	v_pk_add_f16 v3, v35, v3
	;; [unrolled: 1-line block ×3, first 2 shown]
	v_add_f16_e32 v48, v80, v48
	v_add_f16_e32 v16, v62, v16
	v_pk_add_f16 v5, v5, v6
	v_bfi_b32 v6, 0xffff, v43, v41
	v_pk_add_f16 v2, v50, v2
	v_pack_b32_f16 v22, v89, v87
	v_pack_b32_f16 v7, v74, v66
	;; [unrolled: 1-line block ×3, first 2 shown]
	v_alignbit_b32 v3, v3, v4, 16
	v_pack_b32_f16 v4, v25, v4
	v_pack_b32_f16 v17, v18, v17
	;; [unrolled: 1-line block ×4, first 2 shown]
	v_perm_b32 v19, v31, v15, 0x5040100
	v_pk_add_f16 v5, v6, v5
	ds_store_2addr_b32 v27, v0, v1 offset1:1
	ds_store_2addr_b32 v27, v2, v22 offset0:2 offset1:3
	ds_store_2addr_b32 v27, v23, v7 offset0:4 offset1:5
	ds_store_2addr_b32 v27, v4, v3 offset0:6 offset1:7
	ds_store_2addr_b32 v27, v18, v17 offset0:8 offset1:9
	ds_store_2addr_b32 v27, v16, v19 offset0:10 offset1:11
	ds_store_b32 v27, v5 offset:48
.LBB0_14:
	s_wait_alu 0xfffe
	s_or_b32 exec_lo, exec_lo, s1
	v_and_b32_e32 v0, 0xff, v10
	s_load_b64 s[2:3], s[2:3], 0x0
	global_wb scope:SCOPE_SE
	s_wait_dscnt 0x0
	s_wait_kmcnt 0x0
	s_barrier_signal -1
	s_barrier_wait -1
	v_mul_lo_u16 v0, 0x4f, v0
	global_inv scope:SCOPE_SE
	v_cmp_gt_u32_e64 s0, 0x41, v10
	v_lshrrev_b16 v36, 10, v0
	s_delay_alu instid0(VALU_DEP_1) | instskip(SKIP_1) | instid1(VALU_DEP_2)
	v_mul_lo_u16 v0, v36, 13
	v_and_b32_e32 v36, 0xffff, v36
	v_sub_nc_u16 v0, v10, v0
	s_delay_alu instid0(VALU_DEP_2) | instskip(NEXT) | instid1(VALU_DEP_2)
	v_mad_u32_u24 v36, 0x23c, v36, 0
	v_and_b32_e32 v37, 0xff, v0
	s_delay_alu instid0(VALU_DEP_1) | instskip(SKIP_1) | instid1(VALU_DEP_2)
	v_mul_u32_u24_e32 v0, 10, v37
	v_lshlrev_b32_e32 v44, 2, v37
	v_lshlrev_b32_e32 v16, 2, v0
	s_delay_alu instid0(VALU_DEP_2)
	v_add3_u32 v36, v36, v44, v14
	s_clause 0x2
	global_load_b128 v[0:3], v16, s[8:9]
	global_load_b128 v[4:7], v16, s[8:9] offset:16
	global_load_b64 v[16:17], v16, s[8:9] offset:32
	ds_load_2addr_b32 v[22:23], v21 offset0:134 offset1:212
	ds_load_2addr_b32 v[20:21], v20 offset0:34 offset1:112
	;; [unrolled: 1-line block ×5, first 2 shown]
	ds_load_b32 v34, v29
	ds_load_u16 v35, v30 offset:1562
	global_wb scope:SCOPE_SE
	s_wait_loadcnt_dscnt 0x0
	s_barrier_signal -1
	s_barrier_wait -1
	global_inv scope:SCOPE_SE
	v_lshrrev_b32_e32 v38, 16, v23
	v_lshrrev_b32_e32 v40, 16, v21
	;; [unrolled: 1-line block ×16, first 2 shown]
	v_mul_f16_e32 v56, v14, v43
	v_mul_f16_e32 v14, v14, v26
	v_lshrrev_b32_e32 v48, 16, v2
	v_lshrrev_b32_e32 v49, 16, v3
	;; [unrolled: 1-line block ×4, first 2 shown]
	v_mul_f16_e32 v57, v44, v45
	v_mul_f16_e32 v44, v44, v27
	v_mul_f16_e32 v60, v35, v50
	v_mul_f16_e32 v63, v40, v53
	v_mul_f16_e32 v64, v41, v54
	v_mul_f16_e32 v54, v18, v54
	v_mul_f16_e32 v65, v42, v55
	v_mul_f16_e32 v55, v19, v55
	v_fmac_f16_e32 v56, v0, v26
	v_fma_f16 v0, v0, v43, -v14
	v_mul_f16_e32 v58, v48, v46
	v_mul_f16_e32 v48, v48, v24
	v_mul_f16_e32 v59, v49, v47
	v_mul_f16_e32 v49, v49, v25
	v_mul_f16_e32 v50, v50, v22
	v_mul_f16_e32 v61, v38, v51
	v_mul_f16_e32 v51, v23, v51
	v_mul_f16_e32 v62, v39, v52
	v_mul_f16_e32 v52, v20, v52
	v_mul_f16_e32 v53, v21, v53
	v_fmac_f16_e32 v57, v1, v27
	v_fma_f16 v1, v1, v45, -v44
	v_fmac_f16_e32 v60, v4, v22
	v_fmac_f16_e32 v63, v21, v7
	;; [unrolled: 1-line block ×3, first 2 shown]
	v_fma_f16 v21, v42, v17, -v55
	v_fma_f16 v22, v41, v16, -v54
	v_add_f16_e32 v14, v56, v34
	v_add_f16_e32 v16, v0, v37
	v_fmac_f16_e32 v58, v2, v24
	v_fma_f16 v2, v2, v46, -v48
	v_fmac_f16_e32 v59, v3, v25
	v_fma_f16 v3, v3, v47, -v49
	v_fma_f16 v4, v35, v4, -v50
	v_fmac_f16_e32 v61, v23, v5
	v_fma_f16 v5, v38, v5, -v51
	v_fmac_f16_e32 v62, v20, v6
	v_fma_f16 v6, v39, v6, -v52
	v_fma_f16 v7, v40, v7, -v53
	v_fmac_f16_e32 v65, v19, v17
	v_add_f16_e32 v18, v0, v21
	v_sub_f16_e32 v0, v0, v21
	v_add_f16_e32 v23, v1, v22
	v_sub_f16_e32 v25, v1, v22
	v_add_f16_e32 v14, v14, v57
	v_add_f16_e32 v1, v16, v1
	;; [unrolled: 1-line block ×3, first 2 shown]
	v_sub_f16_e32 v19, v56, v65
	v_add_f16_e32 v27, v2, v7
	v_sub_f16_e32 v38, v2, v7
	v_add_f16_e32 v40, v3, v6
	v_sub_f16_e32 v42, v3, v6
	v_sub_f16_e32 v43, v4, v5
	v_add_f16_e32 v45, v4, v5
	v_mul_f16_e32 v16, 0xb853, v0
	v_mul_f16_e32 v47, 0x3abb, v18
	;; [unrolled: 1-line block ×10, first 2 shown]
	v_add_f16_e32 v14, v14, v58
	v_add_f16_e32 v1, v1, v2
	;; [unrolled: 1-line block ×3, first 2 shown]
	v_sub_f16_e32 v24, v57, v64
	v_add_f16_e32 v26, v58, v63
	v_sub_f16_e32 v35, v58, v63
	v_add_f16_e32 v39, v59, v62
	;; [unrolled: 2-line block ×3, first 2 shown]
	v_sub_f16_e32 v46, v60, v61
	v_mul_f16_e32 v54, 0xbb47, v25
	v_mul_f16_e32 v55, 0x36a6, v23
	;; [unrolled: 1-line block ×40, first 2 shown]
	v_fmamk_f16 v2, v17, 0x3abb, v16
	v_fmamk_f16 v58, v19, 0x3853, v47
	v_fma_f16 v16, v17, 0x3abb, -v16
	v_fmac_f16_e32 v47, 0xb853, v19
	v_fmamk_f16 v94, v17, 0x36a6, v48
	v_fmamk_f16 v95, v19, 0x3b47, v49
	v_fma_f16 v48, v17, 0x36a6, -v48
	v_fmac_f16_e32 v49, 0xbb47, v19
	;; [unrolled: 4-line block ×3, first 2 shown]
	v_fmamk_f16 v98, v17, 0xb93d, v52
	v_fmamk_f16 v99, v19, 0x3a0c, v53
	v_fma_f16 v52, v17, 0xb93d, -v52
	v_fmamk_f16 v100, v17, 0xbbad, v0
	v_fmamk_f16 v101, v19, 0x3482, v18
	v_fma_f16 v0, v17, 0xbbad, -v0
	v_fmac_f16_e32 v18, 0xb482, v19
	v_add_f16_e32 v14, v14, v59
	v_add_f16_e32 v1, v1, v3
	v_fmac_f16_e32 v53, 0xba0c, v19
	v_fmamk_f16 v17, v20, 0x36a6, v54
	v_fmamk_f16 v19, v24, 0x3b47, v55
	v_fma_f16 v54, v20, 0x36a6, -v54
	v_fmac_f16_e32 v55, 0xbb47, v24
	v_fmamk_f16 v102, v20, 0xb93d, v56
	v_fmamk_f16 v103, v24, 0x3a0c, v57
	v_fma_f16 v56, v20, 0xb93d, -v56
	;; [unrolled: 4-line block ×14, first 2 shown]
	v_fmac_f16_e32 v85, 0xb482, v41
	v_fmamk_f16 v124, v39, 0x36a6, v42
	v_fma_f16 v39, v39, 0x36a6, -v42
	v_fmamk_f16 v42, v41, 0xbb47, v40
	v_fmac_f16_e32 v40, 0x3b47, v41
	v_fmamk_f16 v41, v44, 0xbbad, v86
	v_fma_f16 v86, v44, 0xbbad, -v86
	v_fmamk_f16 v125, v44, 0x3abb, v87
	v_fma_f16 v87, v44, 0x3abb, -v87
	;; [unrolled: 2-line block ×4, first 2 shown]
	v_fma_f16 v128, 0xb08e, v44, v43
	v_fma_f16 v43, v44, 0xb08e, -v43
	v_fmamk_f16 v44, v46, 0x3482, v90
	v_fmac_f16_e32 v90, 0xb482, v46
	v_fma_f16 v129, 0xb853, v46, v91
	v_fmac_f16_e32 v91, 0x3853, v46
	v_fma_f16 v130, 0x3a0c, v46, v92
	;; [unrolled: 2-line block ×4, first 2 shown]
	v_fmac_f16_e32 v45, 0xbbeb, v46
	v_add_f16_e32 v2, v2, v34
	v_add_f16_e32 v3, v16, v34
	;; [unrolled: 1-line block ×91, first 2 shown]
	v_add_f16_e64 v6, v129, v16
	v_add_f16_e32 v42, v126, v20
	v_add_f16_e64 v23, v130, v23
	v_add_f16_e32 v2, v88, v24
	v_add_f16_e32 v20, v92, v25
	;; [unrolled: 1-line block ×3, first 2 shown]
	v_add_f16_e64 v25, v131, v27
	v_add_f16_e32 v1, v89, v34
	v_add_f16_e64 v26, v128, v37
	v_add_f16_e64 v27, v132, v38
	v_add_f16_e32 v34, v40, v64
	v_add_f16_e32 v7, v7, v22
	;; [unrolled: 1-line block ×9, first 2 shown]
	v_pack_b32_f16 v5, v5, v6
	v_pack_b32_f16 v6, v42, v23
	;; [unrolled: 1-line block ×3, first 2 shown]
	v_add_f16_e32 v26, v34, v65
	v_add_f16_e32 v7, v7, v21
	v_pack_b32_f16 v22, v24, v25
	v_pack_b32_f16 v24, v0, v16
	;; [unrolled: 1-line block ×7, first 2 shown]
	ds_store_2addr_b32 v36, v5, v6 offset0:26 offset1:39
	v_pack_b32_f16 v5, v26, v7
	ds_store_2addr_b32 v36, v22, v23 offset0:52 offset1:65
	ds_store_2addr_b32 v36, v24, v25 offset0:78 offset1:91
	;; [unrolled: 1-line block ×3, first 2 shown]
	ds_store_b32 v36, v34 offset:520
	ds_store_2addr_b32 v36, v5, v4 offset1:13
	global_wb scope:SCOPE_SE
	s_wait_dscnt 0x0
	s_barrier_signal -1
	s_barrier_wait -1
	global_inv scope:SCOPE_SE
	ds_load_2addr_b32 v[6:7], v32 offset0:15 offset1:158
	ds_load_2addr_b32 v[4:5], v33 offset0:45 offset1:188
	ds_load_b32 v22, v29
	ds_load_b32 v23, v30 offset:2860
	s_and_saveexec_b32 s1, s0
	s_cbranch_execz .LBB0_16
; %bb.15:
	v_add_nc_u32_e32 v2, 0x400, v30
	v_add_nc_u32_e32 v14, 0xa00, v30
	ds_load_2addr_b32 v[0:1], v30 offset0:78 offset1:221
	ds_load_2addr_b32 v[2:3], v2 offset0:108 offset1:251
	ds_load_2addr_b32 v[14:15], v14 offset0:10 offset1:153
	s_wait_dscnt 0x2
	v_lshrrev_b32_e32 v16, 16, v0
	v_lshrrev_b32_e32 v19, 16, v1
	s_wait_dscnt 0x1
	v_lshrrev_b32_e32 v17, 16, v3
	s_wait_dscnt 0x0
	v_lshrrev_b32_e32 v18, 16, v14
	v_lshrrev_b32_e32 v31, 16, v15
	v_lshrrev_b32_e32 v20, 16, v2
.LBB0_16:
	s_wait_alu 0xfffe
	s_or_b32 exec_lo, exec_lo, s1
	v_mul_u32_u24_e32 v21, 5, v10
	s_wait_dscnt 0x0
	v_lshrrev_b32_e32 v34, 16, v23
	v_lshrrev_b32_e32 v36, 16, v4
	;; [unrolled: 1-line block ×4, first 2 shown]
	v_lshlrev_b32_e32 v21, 2, v21
	v_lshrrev_b32_e32 v37, 16, v7
	v_lshrrev_b32_e32 v33, 16, v22
	v_add_nc_u32_e32 v39, 0x800, v30
	s_clause 0x1
	global_load_b128 v[24:27], v21, s[8:9] offset:520
	global_load_b32 v32, v21, s[8:9] offset:536
	v_add_nc_u32_e32 v21, 0x400, v30
	global_wb scope:SCOPE_SE
	s_wait_loadcnt 0x0
	s_barrier_signal -1
	s_barrier_wait -1
	global_inv scope:SCOPE_SE
	v_lshrrev_b32_e32 v40, 16, v24
	v_lshrrev_b32_e32 v42, 16, v26
	v_lshrrev_b32_e32 v44, 16, v32
	v_lshrrev_b32_e32 v41, 16, v25
	v_lshrrev_b32_e32 v43, 16, v27
	v_mul_f16_e32 v45, v40, v38
	v_mul_f16_e32 v40, v40, v6
	;; [unrolled: 1-line block ×10, first 2 shown]
	v_fmac_f16_e32 v45, v24, v6
	v_fma_f16 v6, v24, v38, -v40
	v_fmac_f16_e32 v47, v26, v4
	v_fma_f16 v4, v26, v36, -v42
	;; [unrolled: 2-line block ×5, first 2 shown]
	v_sub_f16_e32 v36, v4, v23
	v_add_f16_e32 v37, v6, v4
	v_add_f16_e32 v4, v4, v23
	;; [unrolled: 1-line block ×4, first 2 shown]
	v_sub_f16_e32 v26, v7, v5
	v_add_f16_e32 v27, v33, v7
	v_add_f16_e32 v7, v7, v5
	;; [unrolled: 1-line block ×4, first 2 shown]
	v_sub_f16_e32 v38, v47, v49
	v_fmac_f16_e32 v6, -0.5, v4
	v_sub_f16_e32 v32, v46, v48
	v_add_f16_e32 v24, v24, v48
	v_fmac_f16_e32 v22, -0.5, v25
	v_add_f16_e32 v5, v27, v5
	v_fmac_f16_e32 v33, -0.5, v7
	;; [unrolled: 2-line block ×3, first 2 shown]
	v_fmamk_f16 v27, v38, 0x3aee, v6
	v_fmac_f16_e32 v6, 0xbaee, v38
	v_add_f16_e32 v23, v37, v23
	v_fmamk_f16 v4, v26, 0xbaee, v22
	v_fmac_f16_e32 v22, 0x3aee, v26
	v_fmamk_f16 v25, v32, 0x3aee, v33
	v_fmac_f16_e32 v33, 0xbaee, v32
	v_fmamk_f16 v26, v36, 0xbaee, v45
	v_add_f16_e32 v32, v24, v7
	v_sub_f16_e32 v7, v24, v7
	v_mul_f16_e32 v24, 0xbaee, v27
	v_mul_f16_e32 v27, 0.5, v27
	v_fmac_f16_e32 v45, 0x3aee, v36
	v_mul_f16_e32 v35, 0xbaee, v6
	v_mul_f16_e32 v6, -0.5, v6
	v_add_f16_e32 v34, v5, v23
	v_fmac_f16_e32 v24, 0.5, v26
	v_fmac_f16_e32 v27, 0x3aee, v26
	v_fmac_f16_e32 v35, -0.5, v45
	v_fmac_f16_e32 v6, 0x3aee, v45
	v_sub_f16_e32 v5, v5, v23
	v_pack_b32_f16 v23, v32, v34
	v_add_f16_e32 v26, v4, v24
	v_add_f16_e32 v34, v25, v27
	;; [unrolled: 1-line block ×4, first 2 shown]
	v_sub_f16_e32 v4, v4, v24
	v_sub_f16_e32 v22, v22, v35
	;; [unrolled: 1-line block ×4, first 2 shown]
	v_pack_b32_f16 v5, v7, v5
	v_pack_b32_f16 v7, v26, v34
	;; [unrolled: 1-line block ×5, first 2 shown]
	ds_store_2addr_b32 v30, v23, v7 offset1:143
	ds_store_2addr_b32 v21, v25, v5 offset0:30 offset1:173
	ds_store_2addr_b32 v39, v4, v6 offset0:60 offset1:203
	s_and_saveexec_b32 s1, s0
	s_cbranch_execz .LBB0_18
; %bb.17:
	v_add_nc_u32_e32 v4, 0x4e, v10
	v_add_nc_u32_e32 v5, 0xffffffbf, v10
	s_delay_alu instid0(VALU_DEP_1) | instskip(SKIP_1) | instid1(VALU_DEP_2)
	v_cndmask_b32_e64 v4, v5, v4, s0
	v_mov_b32_e32 v5, 0
	v_mul_i32_i24_e32 v4, 5, v4
	s_delay_alu instid0(VALU_DEP_1) | instskip(NEXT) | instid1(VALU_DEP_1)
	v_lshlrev_b64_e32 v[4:5], 2, v[4:5]
	v_add_co_u32 v22, s0, s8, v4
	s_wait_alu 0xf1ff
	s_delay_alu instid0(VALU_DEP_2)
	v_add_co_ci_u32_e64 v23, s0, s9, v5, s0
	s_clause 0x1
	global_load_b128 v[4:7], v[22:23], off offset:520
	global_load_b32 v22, v[22:23], off offset:536
	v_add_nc_u32_e32 v23, 0xa00, v30
	s_wait_loadcnt 0x1
	v_lshrrev_b32_e32 v24, 16, v5
	v_lshrrev_b32_e32 v26, 16, v4
	;; [unrolled: 1-line block ×3, first 2 shown]
	s_wait_loadcnt 0x0
	v_lshrrev_b32_e32 v32, 16, v22
	v_lshrrev_b32_e32 v25, 16, v7
	v_mul_f16_e32 v33, v2, v24
	v_mul_f16_e32 v24, v20, v24
	;; [unrolled: 1-line block ×10, first 2 shown]
	v_fmac_f16_e32 v24, v2, v5
	v_fmac_f16_e32 v35, v1, v4
	v_fma_f16 v1, v17, v6, -v27
	v_fma_f16 v2, v31, v22, -v32
	v_fma_f16 v20, v20, v5, -v33
	v_fma_f16 v18, v18, v7, -v34
	v_fmac_f16_e32 v25, v14, v7
	v_fmac_f16_e32 v36, v3, v6
	;; [unrolled: 1-line block ×3, first 2 shown]
	v_fma_f16 v3, v19, v4, -v26
	v_add_f16_e32 v14, v1, v2
	v_add_f16_e32 v4, v20, v18
	v_sub_f16_e32 v7, v1, v2
	v_add_f16_e32 v6, v36, v37
	v_sub_f16_e32 v15, v36, v37
	v_add_f16_e32 v17, v16, v20
	v_add_f16_e32 v1, v3, v1
	;; [unrolled: 1-line block ×3, first 2 shown]
	v_fma_f16 v3, -0.5, v14, v3
	v_sub_f16_e32 v5, v24, v25
	v_add_f16_e32 v22, v0, v24
	v_add_f16_e32 v24, v35, v36
	v_sub_f16_e32 v20, v20, v18
	v_fma_f16 v4, -0.5, v4, v16
	v_fma_f16 v6, -0.5, v6, v35
	v_add_f16_e32 v14, v17, v18
	v_add_f16_e32 v1, v1, v2
	v_fma_f16 v0, -0.5, v19, v0
	v_fmamk_f16 v19, v15, 0xbaee, v3
	v_fmac_f16_e32 v3, 0x3aee, v15
	v_add_f16_e32 v2, v22, v25
	v_add_f16_e32 v16, v24, v37
	v_fmamk_f16 v17, v5, 0xbaee, v4
	v_fmamk_f16 v18, v7, 0x3aee, v6
	v_fmac_f16_e32 v4, 0x3aee, v5
	v_fmac_f16_e32 v6, 0xbaee, v7
	v_sub_f16_e32 v5, v14, v1
	v_fmamk_f16 v7, v20, 0x3aee, v0
	v_fmac_f16_e32 v0, 0xbaee, v20
	v_add_f16_e32 v1, v14, v1
	v_mul_f16_e32 v14, -0.5, v19
	v_mul_f16_e32 v20, 0.5, v3
	v_mul_f16_e32 v3, 0xbaee, v3
	v_sub_f16_e32 v15, v2, v16
	v_add_f16_e32 v2, v2, v16
	v_mul_f16_e32 v16, 0xbaee, v19
	v_fmac_f16_e32 v14, 0x3aee, v18
	v_fmac_f16_e32 v20, 0x3aee, v6
	v_fmac_f16_e32 v3, 0.5, v6
	v_pack_b32_f16 v1, v2, v1
	v_fmac_f16_e32 v16, -0.5, v18
	v_sub_f16_e32 v2, v17, v14
	v_sub_f16_e32 v6, v4, v20
	v_add_f16_e32 v14, v17, v14
	v_add_f16_e32 v4, v4, v20
	;; [unrolled: 1-line block ×4, first 2 shown]
	v_sub_f16_e32 v0, v0, v3
	v_sub_f16_e32 v3, v7, v16
	v_pack_b32_f16 v5, v15, v5
	v_pack_b32_f16 v4, v17, v4
	;; [unrolled: 1-line block ×5, first 2 shown]
	ds_store_2addr_b32 v30, v1, v4 offset0:78 offset1:221
	ds_store_2addr_b32 v21, v7, v5 offset0:108 offset1:251
	;; [unrolled: 1-line block ×3, first 2 shown]
.LBB0_18:
	s_wait_alu 0xfffe
	s_or_b32 exec_lo, exec_lo, s1
	global_wb scope:SCOPE_SE
	s_wait_dscnt 0x0
	s_barrier_signal -1
	s_barrier_wait -1
	global_inv scope:SCOPE_SE
	ds_load_b32 v6, v29
	v_sub_nc_u32_e32 v2, v28, v11
	s_mov_b32 s1, exec_lo
                                        ; implicit-def: $vgpr5
                                        ; implicit-def: $vgpr3
                                        ; implicit-def: $vgpr4
                                        ; implicit-def: $vgpr0_vgpr1
	s_wait_dscnt 0x0
	v_lshrrev_b32_e32 v7, 16, v6
	v_cmpx_ne_u32_e32 0, v10
	s_wait_alu 0xfffe
	s_xor_b32 s1, exec_lo, s1
	s_cbranch_execz .LBB0_20
; %bb.19:
	v_mov_b32_e32 v11, 0
	s_delay_alu instid0(VALU_DEP_1) | instskip(NEXT) | instid1(VALU_DEP_1)
	v_lshlrev_b64_e32 v[0:1], 2, v[10:11]
	v_add_co_u32 v0, s0, s8, v0
	s_wait_alu 0xf1ff
	s_delay_alu instid0(VALU_DEP_2)
	v_add_co_ci_u32_e64 v1, s0, s9, v1, s0
	global_load_b32 v0, v[0:1], off offset:3380
	ds_load_b32 v1, v2 offset:3432
	s_wait_dscnt 0x0
	v_lshrrev_b32_e32 v3, 16, v1
	v_sub_f16_e32 v4, v6, v1
	v_add_f16_e32 v1, v1, v6
	s_delay_alu instid0(VALU_DEP_3) | instskip(SKIP_1) | instid1(VALU_DEP_4)
	v_add_f16_e32 v5, v3, v7
	v_sub_f16_e32 v3, v7, v3
	v_mul_f16_e32 v7, 0.5, v4
	s_delay_alu instid0(VALU_DEP_3) | instskip(NEXT) | instid1(VALU_DEP_3)
	v_mul_f16_e32 v5, 0.5, v5
	v_mul_f16_e32 v3, 0.5, v3
	s_wait_loadcnt 0x0
	v_lshrrev_b32_e32 v4, 16, v0
	s_delay_alu instid0(VALU_DEP_1) | instskip(NEXT) | instid1(VALU_DEP_3)
	v_mul_f16_e32 v6, v4, v7
	v_fma_f16 v14, v5, v4, v3
	s_delay_alu instid0(VALU_DEP_2) | instskip(SKIP_2) | instid1(VALU_DEP_4)
	v_fma_f16 v15, 0.5, v1, v6
	v_fma_f16 v1, v1, 0.5, -v6
	v_fma_f16 v6, v5, v4, -v3
	v_fma_f16 v4, -v0, v7, v14
	s_delay_alu instid0(VALU_DEP_4) | instskip(NEXT) | instid1(VALU_DEP_4)
	v_fmac_f16_e32 v15, v0, v5
	v_fma_f16 v3, -v0, v5, v1
	s_delay_alu instid0(VALU_DEP_4)
	v_fma_f16 v5, -v0, v7, v6
	v_dual_mov_b32 v0, v10 :: v_dual_mov_b32 v1, v11
	ds_store_b16 v29, v15
                                        ; implicit-def: $vgpr7
                                        ; implicit-def: $vgpr6
.LBB0_20:
	s_wait_alu 0xfffe
	s_and_not1_saveexec_b32 s0, s1
	s_cbranch_execz .LBB0_22
; %bb.21:
	ds_load_u16 v4, v28 offset:1718
	v_dual_mov_b32 v0, 0 :: v_dual_mov_b32 v5, 0
	v_add_f16_e32 v11, v7, v6
	v_sub_f16_e32 v3, v6, v7
	v_mov_b32_e32 v1, 0
	s_wait_dscnt 0x0
	v_xor_b32_e32 v6, 0x8000, v4
	v_mov_b32_e32 v4, 0
	ds_store_b16 v29, v11
	ds_store_b16 v28, v6 offset:1718
.LBB0_22:
	s_wait_alu 0xfffe
	s_or_b32 exec_lo, exec_lo, s0
	v_lshlrev_b64_e32 v[0:1], 2, v[0:1]
	s_add_nc_u64 s[0:1], s[8:9], 0xd34
	v_perm_b32 v3, v5, v3, 0x5040100
	s_wait_alu 0xfffe
	s_delay_alu instid0(VALU_DEP_2)
	v_add_co_u32 v0, s0, s0, v0
	s_wait_alu 0xf1ff
	v_add_co_ci_u32_e64 v1, s0, s1, v1, s0
	s_mov_b32 s1, exec_lo
	s_clause 0x3
	global_load_b32 v6, v[0:1], off offset:312
	global_load_b32 v7, v[0:1], off offset:624
	global_load_b32 v11, v[0:1], off offset:936
	global_load_b32 v14, v[0:1], off offset:1248
	ds_store_b16 v29, v4 offset:2
	ds_store_b32 v2, v3 offset:3432
	ds_load_b32 v3, v29 offset:312
	ds_load_b32 v4, v2 offset:3120
	s_wait_dscnt 0x0
	v_pk_add_f16 v5, v3, v4 neg_lo:[0,1] neg_hi:[0,1]
	v_pk_add_f16 v3, v3, v4
	s_delay_alu instid0(VALU_DEP_1) | instskip(SKIP_1) | instid1(VALU_DEP_2)
	v_bfi_b32 v4, 0xffff, v5, v3
	v_bfi_b32 v3, 0xffff, v3, v5
	v_pk_mul_f16 v4, v4, 0.5 op_sel_hi:[1,0]
	s_delay_alu instid0(VALU_DEP_2) | instskip(SKIP_1) | instid1(VALU_DEP_1)
	v_pk_mul_f16 v3, v3, 0.5 op_sel_hi:[1,0]
	s_wait_loadcnt 0x3
	v_pk_fma_f16 v5, v6, v4, v3 op_sel:[1,0,0]
	v_pk_mul_f16 v15, v6, v4 op_sel_hi:[0,1]
	v_pk_fma_f16 v16, v6, v4, v3 op_sel:[1,0,0] neg_lo:[1,0,0] neg_hi:[1,0,0]
	v_pk_fma_f16 v3, v6, v4, v3 op_sel:[1,0,0] neg_lo:[0,0,1] neg_hi:[0,0,1]
	s_delay_alu instid0(VALU_DEP_3) | instskip(SKIP_1) | instid1(VALU_DEP_4)
	v_pk_add_f16 v4, v5, v15 op_sel:[0,1] op_sel_hi:[1,0]
	v_pk_add_f16 v5, v5, v15 op_sel:[0,1] op_sel_hi:[1,0] neg_lo:[0,1] neg_hi:[0,1]
	v_pk_add_f16 v6, v16, v15 op_sel:[0,1] op_sel_hi:[1,0] neg_lo:[0,1] neg_hi:[0,1]
	s_delay_alu instid0(VALU_DEP_4) | instskip(NEXT) | instid1(VALU_DEP_3)
	v_pk_add_f16 v3, v3, v15 op_sel:[0,1] op_sel_hi:[1,0] neg_lo:[0,1] neg_hi:[0,1]
	v_bfi_b32 v4, 0xffff, v4, v5
	s_delay_alu instid0(VALU_DEP_2)
	v_bfi_b32 v3, 0xffff, v6, v3
	ds_store_b32 v29, v4 offset:312
	ds_store_b32 v2, v3 offset:3120
	ds_load_b32 v3, v29 offset:624
	ds_load_b32 v4, v2 offset:2808
	s_wait_dscnt 0x0
	v_pk_add_f16 v5, v3, v4 neg_lo:[0,1] neg_hi:[0,1]
	v_pk_add_f16 v3, v3, v4
	s_delay_alu instid0(VALU_DEP_1) | instskip(SKIP_1) | instid1(VALU_DEP_2)
	v_bfi_b32 v4, 0xffff, v5, v3
	v_bfi_b32 v3, 0xffff, v3, v5
	v_pk_mul_f16 v4, v4, 0.5 op_sel_hi:[1,0]
	s_delay_alu instid0(VALU_DEP_2) | instskip(SKIP_1) | instid1(VALU_DEP_2)
	v_pk_mul_f16 v3, v3, 0.5 op_sel_hi:[1,0]
	s_wait_loadcnt 0x2
	v_pk_mul_f16 v6, v7, v4 op_sel_hi:[0,1]
	s_delay_alu instid0(VALU_DEP_2) | instskip(SKIP_2) | instid1(VALU_DEP_3)
	v_pk_fma_f16 v5, v7, v4, v3 op_sel:[1,0,0]
	v_pk_fma_f16 v15, v7, v4, v3 op_sel:[1,0,0] neg_lo:[1,0,0] neg_hi:[1,0,0]
	v_pk_fma_f16 v3, v7, v4, v3 op_sel:[1,0,0] neg_lo:[0,0,1] neg_hi:[0,0,1]
	v_pk_add_f16 v4, v5, v6 op_sel:[0,1] op_sel_hi:[1,0]
	v_pk_add_f16 v5, v5, v6 op_sel:[0,1] op_sel_hi:[1,0] neg_lo:[0,1] neg_hi:[0,1]
	s_delay_alu instid0(VALU_DEP_4) | instskip(NEXT) | instid1(VALU_DEP_4)
	v_pk_add_f16 v7, v15, v6 op_sel:[0,1] op_sel_hi:[1,0] neg_lo:[0,1] neg_hi:[0,1]
	v_pk_add_f16 v3, v3, v6 op_sel:[0,1] op_sel_hi:[1,0] neg_lo:[0,1] neg_hi:[0,1]
	s_delay_alu instid0(VALU_DEP_3) | instskip(NEXT) | instid1(VALU_DEP_2)
	v_bfi_b32 v4, 0xffff, v4, v5
	v_bfi_b32 v3, 0xffff, v7, v3
	ds_store_b32 v29, v4 offset:624
	ds_store_b32 v2, v3 offset:2808
	ds_load_b32 v3, v29 offset:936
	ds_load_b32 v4, v2 offset:2496
	s_wait_dscnt 0x0
	v_pk_add_f16 v5, v3, v4 neg_lo:[0,1] neg_hi:[0,1]
	v_pk_add_f16 v3, v3, v4
	s_delay_alu instid0(VALU_DEP_1) | instskip(SKIP_1) | instid1(VALU_DEP_2)
	v_bfi_b32 v4, 0xffff, v5, v3
	v_bfi_b32 v3, 0xffff, v3, v5
	v_pk_mul_f16 v4, v4, 0.5 op_sel_hi:[1,0]
	s_delay_alu instid0(VALU_DEP_2) | instskip(SKIP_1) | instid1(VALU_DEP_2)
	v_pk_mul_f16 v3, v3, 0.5 op_sel_hi:[1,0]
	s_wait_loadcnt 0x1
	v_pk_mul_f16 v6, v11, v4 op_sel_hi:[0,1]
	s_delay_alu instid0(VALU_DEP_2) | instskip(SKIP_2) | instid1(VALU_DEP_3)
	v_pk_fma_f16 v5, v11, v4, v3 op_sel:[1,0,0]
	v_pk_fma_f16 v7, v11, v4, v3 op_sel:[1,0,0] neg_lo:[1,0,0] neg_hi:[1,0,0]
	v_pk_fma_f16 v3, v11, v4, v3 op_sel:[1,0,0] neg_lo:[0,0,1] neg_hi:[0,0,1]
	v_pk_add_f16 v4, v5, v6 op_sel:[0,1] op_sel_hi:[1,0]
	v_pk_add_f16 v5, v5, v6 op_sel:[0,1] op_sel_hi:[1,0] neg_lo:[0,1] neg_hi:[0,1]
	s_delay_alu instid0(VALU_DEP_4) | instskip(NEXT) | instid1(VALU_DEP_4)
	v_pk_add_f16 v7, v7, v6 op_sel:[0,1] op_sel_hi:[1,0] neg_lo:[0,1] neg_hi:[0,1]
	v_pk_add_f16 v3, v3, v6 op_sel:[0,1] op_sel_hi:[1,0] neg_lo:[0,1] neg_hi:[0,1]
	s_delay_alu instid0(VALU_DEP_3) | instskip(NEXT) | instid1(VALU_DEP_2)
	v_bfi_b32 v4, 0xffff, v4, v5
	;; [unrolled: 27-line block ×3, first 2 shown]
	v_bfi_b32 v3, 0xffff, v7, v3
	ds_store_b32 v29, v4 offset:1248
	ds_store_b32 v2, v3 offset:2184
	v_cmpx_gt_u32_e32 39, v10
	s_cbranch_execz .LBB0_24
; %bb.23:
	global_load_b32 v0, v[0:1], off offset:1560
	ds_load_b32 v1, v29 offset:1560
	ds_load_b32 v3, v2 offset:1872
	s_wait_dscnt 0x0
	v_pk_add_f16 v4, v1, v3 neg_lo:[0,1] neg_hi:[0,1]
	v_pk_add_f16 v1, v1, v3
	s_delay_alu instid0(VALU_DEP_1) | instskip(SKIP_1) | instid1(VALU_DEP_2)
	v_bfi_b32 v3, 0xffff, v4, v1
	v_bfi_b32 v1, 0xffff, v1, v4
	v_pk_mul_f16 v3, v3, 0.5 op_sel_hi:[1,0]
	s_delay_alu instid0(VALU_DEP_2) | instskip(SKIP_1) | instid1(VALU_DEP_1)
	v_pk_mul_f16 v1, v1, 0.5 op_sel_hi:[1,0]
	s_wait_loadcnt 0x0
	v_pk_fma_f16 v4, v0, v3, v1 op_sel:[1,0,0]
	v_pk_mul_f16 v5, v0, v3 op_sel_hi:[0,1]
	v_pk_fma_f16 v6, v0, v3, v1 op_sel:[1,0,0] neg_lo:[1,0,0] neg_hi:[1,0,0]
	v_pk_fma_f16 v0, v0, v3, v1 op_sel:[1,0,0] neg_lo:[0,0,1] neg_hi:[0,0,1]
	s_delay_alu instid0(VALU_DEP_3) | instskip(SKIP_1) | instid1(VALU_DEP_4)
	v_pk_add_f16 v1, v4, v5 op_sel:[0,1] op_sel_hi:[1,0]
	v_pk_add_f16 v3, v4, v5 op_sel:[0,1] op_sel_hi:[1,0] neg_lo:[0,1] neg_hi:[0,1]
	v_pk_add_f16 v4, v6, v5 op_sel:[0,1] op_sel_hi:[1,0] neg_lo:[0,1] neg_hi:[0,1]
	s_delay_alu instid0(VALU_DEP_4) | instskip(NEXT) | instid1(VALU_DEP_3)
	v_pk_add_f16 v0, v0, v5 op_sel:[0,1] op_sel_hi:[1,0] neg_lo:[0,1] neg_hi:[0,1]
	v_bfi_b32 v1, 0xffff, v1, v3
	s_delay_alu instid0(VALU_DEP_2)
	v_bfi_b32 v0, 0xffff, v4, v0
	ds_store_b32 v29, v1 offset:1560
	ds_store_b32 v2, v0 offset:1872
.LBB0_24:
	s_wait_alu 0xfffe
	s_or_b32 exec_lo, exec_lo, s1
	global_wb scope:SCOPE_SE
	s_wait_dscnt 0x0
	s_barrier_signal -1
	s_barrier_wait -1
	global_inv scope:SCOPE_SE
	s_and_saveexec_b32 s0, vcc_lo
	s_cbranch_execz .LBB0_27
; %bb.25:
	v_mul_lo_u32 v2, s3, v12
	v_mul_lo_u32 v3, s2, v13
	v_mad_co_u64_u32 v[0:1], null, s2, v12, 0
	v_dual_mov_b32 v11, 0 :: v_dual_add_nc_u32 v16, 0xea, v10
	v_add_nc_u32_e32 v5, 0x4e, v10
	v_add_nc_u32_e32 v7, 0x9c, v10
	;; [unrolled: 1-line block ×3, first 2 shown]
	s_delay_alu instid0(VALU_DEP_4)
	v_mov_b32_e32 v6, v11
	v_add3_u32 v1, v1, v3, v2
	v_lshlrev_b64_e32 v[3:4], 2, v[8:9]
	v_mov_b32_e32 v8, v11
	v_lshlrev_b64_e32 v[14:15], 2, v[10:11]
	v_lshlrev_b64_e32 v[5:6], 2, v[5:6]
	;; [unrolled: 1-line block ×3, first 2 shown]
	v_mov_b32_e32 v17, v11
	v_dual_mov_b32 v19, v11 :: v_dual_add_nc_u32 v20, 0x186, v10
	v_dual_mov_b32 v21, v11 :: v_dual_add_nc_u32 v24, 0x1d4, v10
	s_delay_alu instid0(VALU_DEP_4) | instskip(SKIP_3) | instid1(VALU_DEP_3)
	v_add_co_u32 v0, vcc_lo, s6, v0
	s_wait_alu 0xfffd
	v_add_co_ci_u32_e32 v1, vcc_lo, s7, v1, vcc_lo
	v_lshlrev_b64_e32 v[16:17], 2, v[16:17]
	v_add_co_u32 v0, vcc_lo, v0, v3
	s_wait_alu 0xfffd
	s_delay_alu instid0(VALU_DEP_3) | instskip(SKIP_1) | instid1(VALU_DEP_3)
	v_add_co_ci_u32_e32 v1, vcc_lo, v1, v4, vcc_lo
	v_lshlrev_b64_e32 v[3:4], 2, v[7:8]
	v_add_co_u32 v7, vcc_lo, v0, v14
	s_wait_alu 0xfffd
	s_delay_alu instid0(VALU_DEP_3)
	v_add_co_ci_u32_e32 v8, vcc_lo, v1, v15, vcc_lo
	v_add_co_u32 v5, vcc_lo, v0, v5
	s_wait_alu 0xfffd
	v_add_co_ci_u32_e32 v6, vcc_lo, v1, v6, vcc_lo
	v_lshl_add_u32 v2, v10, 2, v28
	v_add_co_u32 v3, vcc_lo, v0, v3
	v_lshlrev_b64_e32 v[18:19], 2, v[18:19]
	v_dual_mov_b32 v25, v11 :: v_dual_add_nc_u32 v28, 0x222, v10
	s_wait_alu 0xfffd
	v_add_co_ci_u32_e32 v4, vcc_lo, v1, v4, vcc_lo
	v_add_co_u32 v16, vcc_lo, v0, v16
	v_lshlrev_b64_e32 v[20:21], 2, v[20:21]
	v_dual_mov_b32 v29, v11 :: v_dual_add_nc_u32 v30, 0x270, v10
	v_add_nc_u32_e32 v9, 0x400, v2
	s_wait_alu 0xfffd
	v_add_co_ci_u32_e32 v17, vcc_lo, v1, v17, vcc_lo
	v_add_co_u32 v18, vcc_lo, v0, v18
	v_lshlrev_b64_e32 v[24:25], 2, v[24:25]
	v_dual_mov_b32 v31, v11 :: v_dual_add_nc_u32 v32, 0x2be, v10
	s_wait_alu 0xfffd
	v_add_co_ci_u32_e32 v19, vcc_lo, v1, v19, vcc_lo
	v_add_co_u32 v20, vcc_lo, v0, v20
	v_lshlrev_b64_e32 v[28:29], 2, v[28:29]
	ds_load_2addr_b32 v[22:23], v9 offset0:56 offset1:134
	v_add_nc_u32_e32 v9, 0x600, v2
	v_dual_mov_b32 v33, v11 :: v_dual_add_nc_u32 v36, 0x30c, v10
	s_wait_alu 0xfffd
	v_add_co_ci_u32_e32 v21, vcc_lo, v1, v21, vcc_lo
	ds_load_2addr_b32 v[12:13], v2 offset1:78
	v_add_co_u32 v24, vcc_lo, v0, v24
	v_lshlrev_b64_e32 v[30:31], 2, v[30:31]
	v_mov_b32_e32 v37, v11
	ds_load_2addr_b32 v[14:15], v2 offset0:156 offset1:234
	s_wait_alu 0xfffd
	v_add_co_ci_u32_e32 v25, vcc_lo, v1, v25, vcc_lo
	ds_load_2addr_b32 v[26:27], v9 offset0:84 offset1:162
	v_add_nc_u32_e32 v9, 0x800, v2
	v_add_co_u32 v28, vcc_lo, v0, v28
	v_lshlrev_b64_e32 v[32:33], 2, v[32:33]
	s_wait_alu 0xfffd
	v_add_co_ci_u32_e32 v29, vcc_lo, v1, v29, vcc_lo
	v_add_co_u32 v30, vcc_lo, v0, v30
	v_lshlrev_b64_e32 v[36:37], 2, v[36:37]
	ds_load_2addr_b32 v[34:35], v9 offset0:112 offset1:190
	s_wait_alu 0xfffd
	v_add_co_ci_u32_e32 v31, vcc_lo, v1, v31, vcc_lo
	v_add_co_u32 v32, vcc_lo, v0, v32
	ds_load_b32 v9, v2 offset:3120
	s_wait_alu 0xfffd
	v_add_co_ci_u32_e32 v33, vcc_lo, v1, v33, vcc_lo
	v_add_co_u32 v36, vcc_lo, v0, v36
	s_wait_alu 0xfffd
	v_add_co_ci_u32_e32 v37, vcc_lo, v1, v37, vcc_lo
	v_cmp_eq_u32_e32 vcc_lo, 0x4d, v10
	s_wait_dscnt 0x4
	s_clause 0x1
	global_store_b32 v[7:8], v12, off
	global_store_b32 v[5:6], v13, off
	s_wait_dscnt 0x3
	s_clause 0x3
	global_store_b32 v[3:4], v14, off
	global_store_b32 v[16:17], v15, off
	;; [unrolled: 1-line block ×4, first 2 shown]
	s_wait_dscnt 0x2
	s_clause 0x1
	global_store_b32 v[24:25], v26, off
	global_store_b32 v[28:29], v27, off
	s_wait_dscnt 0x1
	s_clause 0x1
	global_store_b32 v[30:31], v34, off
	global_store_b32 v[32:33], v35, off
	s_wait_dscnt 0x0
	global_store_b32 v[36:37], v9, off
	s_and_b32 exec_lo, exec_lo, vcc_lo
	s_cbranch_execz .LBB0_27
; %bb.26:
	ds_load_b32 v2, v2 offset:3124
	s_wait_dscnt 0x0
	global_store_b32 v[0:1], v2, off offset:3432
.LBB0_27:
	s_nop 0
	s_sendmsg sendmsg(MSG_DEALLOC_VGPRS)
	s_endpgm
	.section	.rodata,"a",@progbits
	.p2align	6, 0x0
	.amdhsa_kernel fft_rtc_back_len858_factors_13_11_6_wgs_234_tpt_78_halfLds_half_op_CI_CI_unitstride_sbrr_R2C_dirReg
		.amdhsa_group_segment_fixed_size 0
		.amdhsa_private_segment_fixed_size 0
		.amdhsa_kernarg_size 104
		.amdhsa_user_sgpr_count 2
		.amdhsa_user_sgpr_dispatch_ptr 0
		.amdhsa_user_sgpr_queue_ptr 0
		.amdhsa_user_sgpr_kernarg_segment_ptr 1
		.amdhsa_user_sgpr_dispatch_id 0
		.amdhsa_user_sgpr_private_segment_size 0
		.amdhsa_wavefront_size32 1
		.amdhsa_uses_dynamic_stack 0
		.amdhsa_enable_private_segment 0
		.amdhsa_system_sgpr_workgroup_id_x 1
		.amdhsa_system_sgpr_workgroup_id_y 0
		.amdhsa_system_sgpr_workgroup_id_z 0
		.amdhsa_system_sgpr_workgroup_info 0
		.amdhsa_system_vgpr_workitem_id 0
		.amdhsa_next_free_vgpr 133
		.amdhsa_next_free_sgpr 39
		.amdhsa_reserve_vcc 1
		.amdhsa_float_round_mode_32 0
		.amdhsa_float_round_mode_16_64 0
		.amdhsa_float_denorm_mode_32 3
		.amdhsa_float_denorm_mode_16_64 3
		.amdhsa_fp16_overflow 0
		.amdhsa_workgroup_processor_mode 1
		.amdhsa_memory_ordered 1
		.amdhsa_forward_progress 0
		.amdhsa_round_robin_scheduling 0
		.amdhsa_exception_fp_ieee_invalid_op 0
		.amdhsa_exception_fp_denorm_src 0
		.amdhsa_exception_fp_ieee_div_zero 0
		.amdhsa_exception_fp_ieee_overflow 0
		.amdhsa_exception_fp_ieee_underflow 0
		.amdhsa_exception_fp_ieee_inexact 0
		.amdhsa_exception_int_div_zero 0
	.end_amdhsa_kernel
	.text
.Lfunc_end0:
	.size	fft_rtc_back_len858_factors_13_11_6_wgs_234_tpt_78_halfLds_half_op_CI_CI_unitstride_sbrr_R2C_dirReg, .Lfunc_end0-fft_rtc_back_len858_factors_13_11_6_wgs_234_tpt_78_halfLds_half_op_CI_CI_unitstride_sbrr_R2C_dirReg
                                        ; -- End function
	.section	.AMDGPU.csdata,"",@progbits
; Kernel info:
; codeLenInByte = 11112
; NumSgprs: 41
; NumVgprs: 133
; ScratchSize: 0
; MemoryBound: 0
; FloatMode: 240
; IeeeMode: 1
; LDSByteSize: 0 bytes/workgroup (compile time only)
; SGPRBlocks: 5
; VGPRBlocks: 16
; NumSGPRsForWavesPerEU: 41
; NumVGPRsForWavesPerEU: 133
; Occupancy: 10
; WaveLimiterHint : 1
; COMPUTE_PGM_RSRC2:SCRATCH_EN: 0
; COMPUTE_PGM_RSRC2:USER_SGPR: 2
; COMPUTE_PGM_RSRC2:TRAP_HANDLER: 0
; COMPUTE_PGM_RSRC2:TGID_X_EN: 1
; COMPUTE_PGM_RSRC2:TGID_Y_EN: 0
; COMPUTE_PGM_RSRC2:TGID_Z_EN: 0
; COMPUTE_PGM_RSRC2:TIDIG_COMP_CNT: 0
	.text
	.p2alignl 7, 3214868480
	.fill 96, 4, 3214868480
	.type	__hip_cuid_5179b15c96d7fe2c,@object ; @__hip_cuid_5179b15c96d7fe2c
	.section	.bss,"aw",@nobits
	.globl	__hip_cuid_5179b15c96d7fe2c
__hip_cuid_5179b15c96d7fe2c:
	.byte	0                               ; 0x0
	.size	__hip_cuid_5179b15c96d7fe2c, 1

	.ident	"AMD clang version 19.0.0git (https://github.com/RadeonOpenCompute/llvm-project roc-6.4.0 25133 c7fe45cf4b819c5991fe208aaa96edf142730f1d)"
	.section	".note.GNU-stack","",@progbits
	.addrsig
	.addrsig_sym __hip_cuid_5179b15c96d7fe2c
	.amdgpu_metadata
---
amdhsa.kernels:
  - .args:
      - .actual_access:  read_only
        .address_space:  global
        .offset:         0
        .size:           8
        .value_kind:     global_buffer
      - .offset:         8
        .size:           8
        .value_kind:     by_value
      - .actual_access:  read_only
        .address_space:  global
        .offset:         16
        .size:           8
        .value_kind:     global_buffer
      - .actual_access:  read_only
        .address_space:  global
        .offset:         24
        .size:           8
        .value_kind:     global_buffer
      - .actual_access:  read_only
        .address_space:  global
        .offset:         32
        .size:           8
        .value_kind:     global_buffer
      - .offset:         40
        .size:           8
        .value_kind:     by_value
      - .actual_access:  read_only
        .address_space:  global
        .offset:         48
        .size:           8
        .value_kind:     global_buffer
      - .actual_access:  read_only
        .address_space:  global
        .offset:         56
        .size:           8
        .value_kind:     global_buffer
      - .offset:         64
        .size:           4
        .value_kind:     by_value
      - .actual_access:  read_only
        .address_space:  global
        .offset:         72
        .size:           8
        .value_kind:     global_buffer
      - .actual_access:  read_only
        .address_space:  global
        .offset:         80
        .size:           8
        .value_kind:     global_buffer
      - .actual_access:  read_only
        .address_space:  global
        .offset:         88
        .size:           8
        .value_kind:     global_buffer
      - .actual_access:  write_only
        .address_space:  global
        .offset:         96
        .size:           8
        .value_kind:     global_buffer
    .group_segment_fixed_size: 0
    .kernarg_segment_align: 8
    .kernarg_segment_size: 104
    .language:       OpenCL C
    .language_version:
      - 2
      - 0
    .max_flat_workgroup_size: 234
    .name:           fft_rtc_back_len858_factors_13_11_6_wgs_234_tpt_78_halfLds_half_op_CI_CI_unitstride_sbrr_R2C_dirReg
    .private_segment_fixed_size: 0
    .sgpr_count:     41
    .sgpr_spill_count: 0
    .symbol:         fft_rtc_back_len858_factors_13_11_6_wgs_234_tpt_78_halfLds_half_op_CI_CI_unitstride_sbrr_R2C_dirReg.kd
    .uniform_work_group_size: 1
    .uses_dynamic_stack: false
    .vgpr_count:     133
    .vgpr_spill_count: 0
    .wavefront_size: 32
    .workgroup_processor_mode: 1
amdhsa.target:   amdgcn-amd-amdhsa--gfx1201
amdhsa.version:
  - 1
  - 2
...

	.end_amdgpu_metadata
